;; amdgpu-corpus repo=ROCm/rocFFT kind=compiled arch=gfx1201 opt=O3
	.text
	.amdgcn_target "amdgcn-amd-amdhsa--gfx1201"
	.amdhsa_code_object_version 6
	.protected	fft_rtc_fwd_len1320_factors_11_2_3_5_4_wgs_165_tpt_165_sp_ip_CI_unitstride_sbrr_R2C_dirReg ; -- Begin function fft_rtc_fwd_len1320_factors_11_2_3_5_4_wgs_165_tpt_165_sp_ip_CI_unitstride_sbrr_R2C_dirReg
	.globl	fft_rtc_fwd_len1320_factors_11_2_3_5_4_wgs_165_tpt_165_sp_ip_CI_unitstride_sbrr_R2C_dirReg
	.p2align	8
	.type	fft_rtc_fwd_len1320_factors_11_2_3_5_4_wgs_165_tpt_165_sp_ip_CI_unitstride_sbrr_R2C_dirReg,@function
fft_rtc_fwd_len1320_factors_11_2_3_5_4_wgs_165_tpt_165_sp_ip_CI_unitstride_sbrr_R2C_dirReg: ; @fft_rtc_fwd_len1320_factors_11_2_3_5_4_wgs_165_tpt_165_sp_ip_CI_unitstride_sbrr_R2C_dirReg
; %bb.0:
	s_clause 0x2
	s_load_b128 s[4:7], s[0:1], 0x0
	s_load_b64 s[8:9], s[0:1], 0x50
	s_load_b64 s[10:11], s[0:1], 0x18
	v_mul_u32_u24_e32 v1, 0x18e, v0
	v_mov_b32_e32 v3, 0
	s_delay_alu instid0(VALU_DEP_2) | instskip(NEXT) | instid1(VALU_DEP_1)
	v_lshrrev_b32_e32 v1, 16, v1
	v_add_nc_u32_e32 v5, ttmp9, v1
	v_mov_b32_e32 v1, 0
	v_mov_b32_e32 v2, 0
	;; [unrolled: 1-line block ×3, first 2 shown]
	s_wait_kmcnt 0x0
	v_cmp_lt_u64_e64 s2, s[6:7], 2
	s_delay_alu instid0(VALU_DEP_1)
	s_and_b32 vcc_lo, exec_lo, s2
	s_cbranch_vccnz .LBB0_8
; %bb.1:
	s_load_b64 s[2:3], s[0:1], 0x10
	v_mov_b32_e32 v1, 0
	v_mov_b32_e32 v2, 0
	s_add_nc_u64 s[12:13], s[10:11], 8
	s_mov_b64 s[14:15], 1
	s_wait_kmcnt 0x0
	s_add_nc_u64 s[16:17], s[2:3], 8
	s_mov_b32 s3, 0
.LBB0_2:                                ; =>This Inner Loop Header: Depth=1
	s_load_b64 s[18:19], s[16:17], 0x0
                                        ; implicit-def: $vgpr7_vgpr8
	s_mov_b32 s2, exec_lo
	s_wait_kmcnt 0x0
	v_or_b32_e32 v4, s19, v6
	s_delay_alu instid0(VALU_DEP_1)
	v_cmpx_ne_u64_e32 0, v[3:4]
	s_wait_alu 0xfffe
	s_xor_b32 s20, exec_lo, s2
	s_cbranch_execz .LBB0_4
; %bb.3:                                ;   in Loop: Header=BB0_2 Depth=1
	s_cvt_f32_u32 s2, s18
	s_cvt_f32_u32 s21, s19
	s_sub_nc_u64 s[24:25], 0, s[18:19]
	s_wait_alu 0xfffe
	s_delay_alu instid0(SALU_CYCLE_1) | instskip(SKIP_1) | instid1(SALU_CYCLE_2)
	s_fmamk_f32 s2, s21, 0x4f800000, s2
	s_wait_alu 0xfffe
	v_s_rcp_f32 s2, s2
	s_delay_alu instid0(TRANS32_DEP_1) | instskip(SKIP_1) | instid1(SALU_CYCLE_2)
	s_mul_f32 s2, s2, 0x5f7ffffc
	s_wait_alu 0xfffe
	s_mul_f32 s21, s2, 0x2f800000
	s_wait_alu 0xfffe
	s_delay_alu instid0(SALU_CYCLE_2) | instskip(SKIP_1) | instid1(SALU_CYCLE_2)
	s_trunc_f32 s21, s21
	s_wait_alu 0xfffe
	s_fmamk_f32 s2, s21, 0xcf800000, s2
	s_cvt_u32_f32 s23, s21
	s_wait_alu 0xfffe
	s_delay_alu instid0(SALU_CYCLE_1) | instskip(SKIP_1) | instid1(SALU_CYCLE_2)
	s_cvt_u32_f32 s22, s2
	s_wait_alu 0xfffe
	s_mul_u64 s[26:27], s[24:25], s[22:23]
	s_wait_alu 0xfffe
	s_mul_hi_u32 s29, s22, s27
	s_mul_i32 s28, s22, s27
	s_mul_hi_u32 s2, s22, s26
	s_mul_i32 s30, s23, s26
	s_wait_alu 0xfffe
	s_add_nc_u64 s[28:29], s[2:3], s[28:29]
	s_mul_hi_u32 s21, s23, s26
	s_mul_hi_u32 s31, s23, s27
	s_add_co_u32 s2, s28, s30
	s_wait_alu 0xfffe
	s_add_co_ci_u32 s2, s29, s21
	s_mul_i32 s26, s23, s27
	s_add_co_ci_u32 s27, s31, 0
	s_wait_alu 0xfffe
	s_add_nc_u64 s[26:27], s[2:3], s[26:27]
	s_wait_alu 0xfffe
	v_add_co_u32 v4, s2, s22, s26
	s_delay_alu instid0(VALU_DEP_1) | instskip(SKIP_1) | instid1(VALU_DEP_1)
	s_cmp_lg_u32 s2, 0
	s_add_co_ci_u32 s23, s23, s27
	v_readfirstlane_b32 s22, v4
	s_wait_alu 0xfffe
	s_delay_alu instid0(VALU_DEP_1)
	s_mul_u64 s[24:25], s[24:25], s[22:23]
	s_wait_alu 0xfffe
	s_mul_hi_u32 s27, s22, s25
	s_mul_i32 s26, s22, s25
	s_mul_hi_u32 s2, s22, s24
	s_mul_i32 s28, s23, s24
	s_wait_alu 0xfffe
	s_add_nc_u64 s[26:27], s[2:3], s[26:27]
	s_mul_hi_u32 s21, s23, s24
	s_mul_hi_u32 s22, s23, s25
	s_wait_alu 0xfffe
	s_add_co_u32 s2, s26, s28
	s_add_co_ci_u32 s2, s27, s21
	s_mul_i32 s24, s23, s25
	s_add_co_ci_u32 s25, s22, 0
	s_wait_alu 0xfffe
	s_add_nc_u64 s[24:25], s[2:3], s[24:25]
	s_wait_alu 0xfffe
	v_add_co_u32 v4, s2, v4, s24
	s_delay_alu instid0(VALU_DEP_1) | instskip(SKIP_1) | instid1(VALU_DEP_1)
	s_cmp_lg_u32 s2, 0
	s_add_co_ci_u32 s2, s23, s25
	v_mul_hi_u32 v13, v5, v4
	s_wait_alu 0xfffe
	v_mad_co_u64_u32 v[7:8], null, v5, s2, 0
	v_mad_co_u64_u32 v[9:10], null, v6, v4, 0
	;; [unrolled: 1-line block ×3, first 2 shown]
	s_delay_alu instid0(VALU_DEP_3) | instskip(SKIP_1) | instid1(VALU_DEP_4)
	v_add_co_u32 v4, vcc_lo, v13, v7
	s_wait_alu 0xfffd
	v_add_co_ci_u32_e32 v7, vcc_lo, 0, v8, vcc_lo
	s_delay_alu instid0(VALU_DEP_2) | instskip(SKIP_1) | instid1(VALU_DEP_2)
	v_add_co_u32 v4, vcc_lo, v4, v9
	s_wait_alu 0xfffd
	v_add_co_ci_u32_e32 v4, vcc_lo, v7, v10, vcc_lo
	s_wait_alu 0xfffd
	v_add_co_ci_u32_e32 v7, vcc_lo, 0, v12, vcc_lo
	s_delay_alu instid0(VALU_DEP_2) | instskip(SKIP_1) | instid1(VALU_DEP_2)
	v_add_co_u32 v4, vcc_lo, v4, v11
	s_wait_alu 0xfffd
	v_add_co_ci_u32_e32 v9, vcc_lo, 0, v7, vcc_lo
	s_delay_alu instid0(VALU_DEP_2) | instskip(SKIP_1) | instid1(VALU_DEP_3)
	v_mul_lo_u32 v10, s19, v4
	v_mad_co_u64_u32 v[7:8], null, s18, v4, 0
	v_mul_lo_u32 v11, s18, v9
	s_delay_alu instid0(VALU_DEP_2) | instskip(NEXT) | instid1(VALU_DEP_2)
	v_sub_co_u32 v7, vcc_lo, v5, v7
	v_add3_u32 v8, v8, v11, v10
	s_delay_alu instid0(VALU_DEP_1) | instskip(SKIP_1) | instid1(VALU_DEP_1)
	v_sub_nc_u32_e32 v10, v6, v8
	s_wait_alu 0xfffd
	v_subrev_co_ci_u32_e64 v10, s2, s19, v10, vcc_lo
	v_add_co_u32 v11, s2, v4, 2
	s_wait_alu 0xf1ff
	v_add_co_ci_u32_e64 v12, s2, 0, v9, s2
	v_sub_co_u32 v13, s2, v7, s18
	v_sub_co_ci_u32_e32 v8, vcc_lo, v6, v8, vcc_lo
	s_wait_alu 0xf1ff
	v_subrev_co_ci_u32_e64 v10, s2, 0, v10, s2
	s_delay_alu instid0(VALU_DEP_3) | instskip(NEXT) | instid1(VALU_DEP_3)
	v_cmp_le_u32_e32 vcc_lo, s18, v13
	v_cmp_eq_u32_e64 s2, s19, v8
	s_wait_alu 0xfffd
	v_cndmask_b32_e64 v13, 0, -1, vcc_lo
	v_cmp_le_u32_e32 vcc_lo, s19, v10
	s_wait_alu 0xfffd
	v_cndmask_b32_e64 v14, 0, -1, vcc_lo
	v_cmp_le_u32_e32 vcc_lo, s18, v7
	;; [unrolled: 3-line block ×3, first 2 shown]
	s_wait_alu 0xfffd
	v_cndmask_b32_e64 v15, 0, -1, vcc_lo
	v_cmp_eq_u32_e32 vcc_lo, s19, v10
	s_wait_alu 0xf1ff
	s_delay_alu instid0(VALU_DEP_2)
	v_cndmask_b32_e64 v7, v15, v7, s2
	s_wait_alu 0xfffd
	v_cndmask_b32_e32 v10, v14, v13, vcc_lo
	v_add_co_u32 v13, vcc_lo, v4, 1
	s_wait_alu 0xfffd
	v_add_co_ci_u32_e32 v14, vcc_lo, 0, v9, vcc_lo
	s_delay_alu instid0(VALU_DEP_3) | instskip(SKIP_2) | instid1(VALU_DEP_3)
	v_cmp_ne_u32_e32 vcc_lo, 0, v10
	s_wait_alu 0xfffd
	v_cndmask_b32_e32 v10, v13, v11, vcc_lo
	v_cndmask_b32_e32 v8, v14, v12, vcc_lo
	v_cmp_ne_u32_e32 vcc_lo, 0, v7
	s_wait_alu 0xfffd
	s_delay_alu instid0(VALU_DEP_2)
	v_dual_cndmask_b32 v7, v4, v10 :: v_dual_cndmask_b32 v8, v9, v8
.LBB0_4:                                ;   in Loop: Header=BB0_2 Depth=1
	s_wait_alu 0xfffe
	s_and_not1_saveexec_b32 s2, s20
	s_cbranch_execz .LBB0_6
; %bb.5:                                ;   in Loop: Header=BB0_2 Depth=1
	v_cvt_f32_u32_e32 v4, s18
	s_sub_co_i32 s20, 0, s18
	s_delay_alu instid0(VALU_DEP_1) | instskip(NEXT) | instid1(TRANS32_DEP_1)
	v_rcp_iflag_f32_e32 v4, v4
	v_mul_f32_e32 v4, 0x4f7ffffe, v4
	s_delay_alu instid0(VALU_DEP_1) | instskip(SKIP_1) | instid1(VALU_DEP_1)
	v_cvt_u32_f32_e32 v4, v4
	s_wait_alu 0xfffe
	v_mul_lo_u32 v7, s20, v4
	s_delay_alu instid0(VALU_DEP_1) | instskip(NEXT) | instid1(VALU_DEP_1)
	v_mul_hi_u32 v7, v4, v7
	v_add_nc_u32_e32 v4, v4, v7
	s_delay_alu instid0(VALU_DEP_1) | instskip(NEXT) | instid1(VALU_DEP_1)
	v_mul_hi_u32 v4, v5, v4
	v_mul_lo_u32 v7, v4, s18
	v_add_nc_u32_e32 v8, 1, v4
	s_delay_alu instid0(VALU_DEP_2) | instskip(NEXT) | instid1(VALU_DEP_1)
	v_sub_nc_u32_e32 v7, v5, v7
	v_subrev_nc_u32_e32 v9, s18, v7
	v_cmp_le_u32_e32 vcc_lo, s18, v7
	s_wait_alu 0xfffd
	s_delay_alu instid0(VALU_DEP_2) | instskip(NEXT) | instid1(VALU_DEP_1)
	v_dual_cndmask_b32 v7, v7, v9 :: v_dual_cndmask_b32 v4, v4, v8
	v_cmp_le_u32_e32 vcc_lo, s18, v7
	s_delay_alu instid0(VALU_DEP_2) | instskip(SKIP_1) | instid1(VALU_DEP_1)
	v_add_nc_u32_e32 v8, 1, v4
	s_wait_alu 0xfffd
	v_dual_cndmask_b32 v7, v4, v8 :: v_dual_mov_b32 v8, v3
.LBB0_6:                                ;   in Loop: Header=BB0_2 Depth=1
	s_wait_alu 0xfffe
	s_or_b32 exec_lo, exec_lo, s2
	s_load_b64 s[20:21], s[12:13], 0x0
	s_delay_alu instid0(VALU_DEP_1)
	v_mul_lo_u32 v4, v8, s18
	v_mul_lo_u32 v11, v7, s19
	v_mad_co_u64_u32 v[9:10], null, v7, s18, 0
	s_add_nc_u64 s[14:15], s[14:15], 1
	s_add_nc_u64 s[12:13], s[12:13], 8
	s_wait_alu 0xfffe
	v_cmp_ge_u64_e64 s2, s[14:15], s[6:7]
	s_add_nc_u64 s[16:17], s[16:17], 8
	s_delay_alu instid0(VALU_DEP_2) | instskip(NEXT) | instid1(VALU_DEP_3)
	v_add3_u32 v4, v10, v11, v4
	v_sub_co_u32 v5, vcc_lo, v5, v9
	s_wait_alu 0xfffd
	s_delay_alu instid0(VALU_DEP_2) | instskip(SKIP_3) | instid1(VALU_DEP_2)
	v_sub_co_ci_u32_e32 v4, vcc_lo, v6, v4, vcc_lo
	s_and_b32 vcc_lo, exec_lo, s2
	s_wait_kmcnt 0x0
	v_mul_lo_u32 v6, s21, v5
	v_mul_lo_u32 v4, s20, v4
	v_mad_co_u64_u32 v[1:2], null, s20, v5, v[1:2]
	s_delay_alu instid0(VALU_DEP_1)
	v_add3_u32 v2, v6, v2, v4
	s_wait_alu 0xfffe
	s_cbranch_vccnz .LBB0_9
; %bb.7:                                ;   in Loop: Header=BB0_2 Depth=1
	v_dual_mov_b32 v5, v7 :: v_dual_mov_b32 v6, v8
	s_branch .LBB0_2
.LBB0_8:
	v_dual_mov_b32 v8, v6 :: v_dual_mov_b32 v7, v5
.LBB0_9:
	s_lshl_b64 s[2:3], s[6:7], 3
	v_mul_hi_u32 v3, 0x18d3019, v0
	s_wait_alu 0xfffe
	s_add_nc_u64 s[2:3], s[10:11], s[2:3]
	s_load_b64 s[2:3], s[2:3], 0x0
	s_load_b64 s[0:1], s[0:1], 0x20
	s_delay_alu instid0(VALU_DEP_1) | instskip(NEXT) | instid1(VALU_DEP_1)
	v_mul_u32_u24_e32 v3, 0xa5, v3
	v_sub_nc_u32_e32 v20, v0, v3
	s_delay_alu instid0(VALU_DEP_1)
	v_lshl_add_u32 v30, v20, 3, 0
	s_wait_kmcnt 0x0
	v_mul_lo_u32 v4, s2, v8
	v_mul_lo_u32 v5, s3, v7
	v_mad_co_u64_u32 v[1:2], null, s2, v7, v[1:2]
	v_cmp_gt_u64_e32 vcc_lo, s[0:1], v[7:8]
	s_delay_alu instid0(VALU_DEP_2) | instskip(NEXT) | instid1(VALU_DEP_1)
	v_add3_u32 v2, v5, v2, v4
	v_lshlrev_b64_e32 v[22:23], 3, v[1:2]
	s_and_saveexec_b32 s1, vcc_lo
	s_cbranch_execz .LBB0_11
; %bb.10:
	v_dual_mov_b32 v21, 0 :: v_dual_add_nc_u32 v16, 0x800, v30
	s_delay_alu instid0(VALU_DEP_2) | instskip(SKIP_2) | instid1(VALU_DEP_3)
	v_add_co_u32 v2, s0, s8, v22
	s_wait_alu 0xf1ff
	v_add_co_ci_u32_e64 v3, s0, s9, v23, s0
	v_lshlrev_b64_e32 v[0:1], 3, v[20:21]
	v_add_nc_u32_e32 v17, 0x1400, v30
	v_add_nc_u32_e32 v18, 0x1e00, v30
	s_delay_alu instid0(VALU_DEP_3) | instskip(SKIP_1) | instid1(VALU_DEP_4)
	v_add_co_u32 v0, s0, v2, v0
	s_wait_alu 0xf1ff
	v_add_co_ci_u32_e64 v1, s0, v3, v1, s0
	s_clause 0x7
	global_load_b64 v[2:3], v[0:1], off
	global_load_b64 v[4:5], v[0:1], off offset:1320
	global_load_b64 v[6:7], v[0:1], off offset:2640
	global_load_b64 v[8:9], v[0:1], off offset:3960
	global_load_b64 v[10:11], v[0:1], off offset:5280
	global_load_b64 v[12:13], v[0:1], off offset:6600
	global_load_b64 v[14:15], v[0:1], off offset:7920
	global_load_b64 v[0:1], v[0:1], off offset:9240
	s_wait_loadcnt 0x6
	ds_store_2addr_b64 v30, v[2:3], v[4:5] offset1:165
	s_wait_loadcnt 0x4
	ds_store_2addr_b64 v16, v[6:7], v[8:9] offset0:74 offset1:239
	s_wait_loadcnt 0x2
	ds_store_2addr_b64 v17, v[10:11], v[12:13] offset0:20 offset1:185
	;; [unrolled: 2-line block ×3, first 2 shown]
.LBB0_11:
	s_wait_alu 0xfffe
	s_or_b32 exec_lo, exec_lo, s1
	global_wb scope:SCOPE_SE
	s_wait_dscnt 0x0
	s_barrier_signal -1
	s_barrier_wait -1
	global_inv scope:SCOPE_SE
	ds_load_2addr_b64 v[0:3], v30 offset1:120
	ds_load_b64 v[28:29], v30 offset:9600
	v_add_nc_u32_e32 v4, 0x400, v30
	v_add_nc_u32_e32 v5, 0x1c00, v30
	;; [unrolled: 1-line block ×3, first 2 shown]
	s_mov_b32 s1, exec_lo
	s_wait_dscnt 0x0
	v_sub_f32_e32 v46, v2, v28
	v_dual_sub_f32 v40, v3, v29 :: v_dual_add_f32 v35, v29, v3
	ds_load_2addr_b64 v[16:19], v4 offset0:112 offset1:232
	ds_load_2addr_b64 v[4:7], v5 offset0:64 offset1:184
	v_add_nc_u32_e32 v31, 0x1400, v30
	v_mul_f32_e32 v51, 0xbf68dda4, v46
	ds_load_2addr_b64 v[12:15], v21 offset0:96 offset1:216
	v_dual_add_f32 v32, v28, v2 :: v_dual_mul_f32 v49, 0xbf68dda4, v40
	v_mul_f32_e32 v56, 0xbf7d64f0, v40
	v_mul_f32_e32 v60, 0xbf7d64f0, v46
	s_delay_alu instid0(VALU_DEP_3) | instskip(NEXT) | instid1(VALU_DEP_1)
	v_fmamk_f32 v24, v32, 0x3ed4b147, v49
	v_add_f32_e32 v24, v0, v24
	s_wait_dscnt 0x1
	v_dual_add_f32 v33, v6, v16 :: v_dual_add_f32 v34, v7, v17
	ds_load_2addr_b64 v[8:11], v31 offset0:80 offset1:200
	v_dual_sub_f32 v47, v16, v6 :: v_dual_sub_f32 v44, v19, v5
	v_fma_f32 v25, 0x3ed4b147, v35, -v51
	v_dual_sub_f32 v43, v17, v7 :: v_dual_fmamk_f32 v26, v32, 0xbe11bafb, v56
	v_dual_sub_f32 v50, v18, v4 :: v_dual_add_f32 v37, v5, v19
	s_delay_alu instid0(VALU_DEP_3) | instskip(NEXT) | instid1(VALU_DEP_3)
	v_dual_add_f32 v25, v1, v25 :: v_dual_mul_f32 v58, 0xbf4178ce, v47
	v_mul_f32_e32 v53, 0xbf4178ce, v43
	s_delay_alu instid0(VALU_DEP_3) | instskip(SKIP_1) | instid1(VALU_DEP_4)
	v_dual_mul_f32 v62, 0x3e903f40, v43 :: v_dual_mul_f32 v57, 0x3e903f40, v50
	v_fma_f32 v27, 0xbe11bafb, v35, -v60
	v_fma_f32 v38, 0xbf27a4f4, v34, -v58
	v_mul_f32_e32 v68, 0x3e903f40, v47
	v_add_f32_e32 v26, v0, v26
	s_delay_alu instid0(VALU_DEP_4) | instskip(NEXT) | instid1(VALU_DEP_4)
	v_dual_mul_f32 v54, 0x3e903f40, v44 :: v_dual_add_f32 v27, v1, v27
	v_add_f32_e32 v25, v38, v25
	s_wait_dscnt 0x0
	v_sub_f32_e32 v45, v13, v11
	v_fma_f32 v38, 0xbf75a155, v37, -v57
	v_dual_fmamk_f32 v36, v33, 0xbf27a4f4, v53 :: v_dual_sub_f32 v55, v12, v10
	v_fma_f32 v41, 0xbf75a155, v34, -v68
	v_fmamk_f32 v39, v33, 0xbf75a155, v62
	s_delay_alu instid0(VALU_DEP_3) | instskip(NEXT) | instid1(VALU_DEP_3)
	v_dual_add_f32 v25, v38, v25 :: v_dual_add_f32 v24, v36, v24
	v_dual_add_f32 v36, v4, v18 :: v_dual_add_f32 v27, v41, v27
	v_mul_f32_e32 v64, 0x3f68dda4, v44
	s_delay_alu instid0(VALU_DEP_4) | instskip(SKIP_1) | instid1(VALU_DEP_4)
	v_add_f32_e32 v26, v39, v26
	v_mul_f32_e32 v69, 0x3f68dda4, v50
	v_dual_fmamk_f32 v42, v36, 0xbf75a155, v54 :: v_dual_add_f32 v39, v11, v13
	v_dual_add_f32 v38, v10, v12 :: v_dual_mul_f32 v59, 0x3f7d64f0, v45
	v_dual_mul_f32 v66, 0xbf0a6770, v45 :: v_dual_mul_f32 v71, 0xbf0a6770, v55
	s_delay_alu instid0(VALU_DEP_3)
	v_add_f32_e32 v24, v42, v24
	v_fma_f32 v42, 0x3ed4b147, v37, -v69
	global_wb scope:SCOPE_SE
	v_fmamk_f32 v52, v38, 0x3f575c64, v66
	v_fma_f32 v72, 0x3f575c64, v39, -v71
	s_barrier_signal -1
	v_add_f32_e32 v27, v42, v27
	v_fmamk_f32 v41, v36, 0x3ed4b147, v64
	v_mul_f32_e32 v63, 0x3f7d64f0, v55
	s_barrier_wait -1
	global_inv scope:SCOPE_SE
	v_dual_add_f32 v27, v72, v27 :: v_dual_add_f32 v26, v41, v26
	v_fma_f32 v41, 0xbe11bafb, v39, -v63
	s_delay_alu instid0(VALU_DEP_1) | instskip(SKIP_1) | instid1(VALU_DEP_4)
	v_dual_fmamk_f32 v48, v38, 0xbe11bafb, v59 :: v_dual_add_f32 v25, v41, v25
	v_add_f32_e32 v41, v8, v14
	v_add_f32_e32 v26, v52, v26
	v_sub_f32_e32 v52, v14, v8
	s_delay_alu instid0(VALU_DEP_1) | instskip(SKIP_1) | instid1(VALU_DEP_2)
	v_dual_add_f32 v42, v9, v15 :: v_dual_mul_f32 v65, 0x3f0a6770, v52
	v_mul_f32_e32 v70, 0xbf4178ce, v52
	v_fma_f32 v73, 0x3f575c64, v42, -v65
	v_add_f32_e32 v24, v48, v24
	v_sub_f32_e32 v48, v15, v9
	s_delay_alu instid0(VALU_DEP_4) | instskip(NEXT) | instid1(VALU_DEP_4)
	v_fma_f32 v75, 0xbf27a4f4, v42, -v70
	v_add_f32_e32 v25, v73, v25
	s_delay_alu instid0(VALU_DEP_3) | instskip(SKIP_1) | instid1(VALU_DEP_2)
	v_mul_f32_e32 v61, 0x3f0a6770, v48
	v_mul_f32_e32 v67, 0xbf4178ce, v48
	v_dual_add_f32 v27, v75, v27 :: v_dual_fmamk_f32 v72, v41, 0x3f575c64, v61
	s_delay_alu instid0(VALU_DEP_2) | instskip(NEXT) | instid1(VALU_DEP_2)
	v_fmamk_f32 v74, v41, 0xbf27a4f4, v67
	v_add_f32_e32 v24, v72, v24
	s_delay_alu instid0(VALU_DEP_2)
	v_add_f32_e32 v26, v74, v26
	v_cmpx_gt_u32_e32 0x78, v20
	s_cbranch_execz .LBB0_13
; %bb.12:
	v_mul_f32_e32 v72, 0xbf75a155, v35
	v_mul_f32_e32 v84, 0xbe903f40, v40
	v_dual_mul_f32 v80, 0xbe11bafb, v32 :: v_dual_mul_f32 v83, 0xbe11bafb, v42
	v_mul_f32_e32 v82, 0x3ed4b147, v39
	s_delay_alu instid0(VALU_DEP_4) | instskip(NEXT) | instid1(VALU_DEP_4)
	v_fmamk_f32 v73, v46, 0x3e903f40, v72
	v_fmamk_f32 v87, v32, 0xbf75a155, v84
	v_mul_f32_e32 v75, 0xbf27a4f4, v37
	v_fmamk_f32 v89, v52, 0x3f7d64f0, v83
	s_delay_alu instid0(VALU_DEP_4) | instskip(NEXT) | instid1(VALU_DEP_4)
	v_dual_fmamk_f32 v88, v55, 0xbf68dda4, v82 :: v_dual_add_f32 v73, v1, v73
	v_dual_mul_f32 v74, 0x3f575c64, v34 :: v_dual_add_f32 v87, v0, v87
	v_fma_f32 v84, 0xbf75a155, v32, -v84
	v_fmac_f32_e32 v72, 0xbe903f40, v46
	v_fmac_f32_e32 v82, 0x3f68dda4, v55
	s_delay_alu instid0(VALU_DEP_4)
	v_fmamk_f32 v77, v47, 0xbf0a6770, v74
	v_fmac_f32_e32 v83, 0xbf7d64f0, v52
	v_mul_f32_e32 v92, 0xbf0a6770, v44
	v_add_f32_e32 v72, v1, v72
	v_dual_mul_f32 v78, 0x3ed4b147, v32 :: v_dual_mul_f32 v79, 0x3ed4b147, v35
	v_dual_add_f32 v73, v77, v73 :: v_dual_fmac_f32 v74, 0x3f0a6770, v47
	v_mul_f32_e32 v81, 0xbf27a4f4, v33
	v_mul_f32_e32 v77, 0x3f0a6770, v43
	s_delay_alu instid0(VALU_DEP_4) | instskip(NEXT) | instid1(VALU_DEP_4)
	v_dual_mul_f32 v94, 0xbe903f40, v45 :: v_dual_add_f32 v51, v51, v79
	v_add_f32_e32 v72, v74, v72
	v_fmamk_f32 v85, v50, 0x3f4178ce, v75
	v_mul_f32_e32 v76, 0xbe11bafb, v35
	v_sub_f32_e32 v56, v80, v56
	v_mul_f32_e32 v80, 0xbf75a155, v37
	v_mul_f32_e32 v79, 0xbf27a4f4, v42
	v_add_f32_e32 v73, v85, v73
	v_fmamk_f32 v85, v33, 0x3f575c64, v77
	v_mul_f32_e32 v86, 0xbf4178ce, v44
	v_add_f32_e32 v60, v60, v76
	v_add_f32_e32 v56, v0, v56
	;; [unrolled: 1-line block ×4, first 2 shown]
	v_fmamk_f32 v87, v36, 0xbf27a4f4, v86
	v_fma_f32 v86, 0xbf27a4f4, v36, -v86
	v_add_f32_e32 v60, v1, v60
	v_add_f32_e32 v51, v1, v51
	v_sub_f32_e32 v49, v78, v49
	v_add_f32_e32 v74, v87, v85
	v_fma_f32 v77, 0x3f575c64, v33, -v77
	v_dual_mul_f32 v88, 0x3f68dda4, v45 :: v_dual_add_f32 v57, v57, v80
	s_delay_alu instid0(VALU_DEP_4) | instskip(SKIP_1) | instid1(VALU_DEP_3)
	v_dual_add_f32 v70, v70, v79 :: v_dual_add_f32 v49, v0, v49
	v_sub_f32_e32 v53, v81, v53
	v_dual_fmamk_f32 v85, v38, 0x3ed4b147, v88 :: v_dual_add_f32 v2, v0, v2
	s_delay_alu instid0(VALU_DEP_2) | instskip(NEXT) | instid1(VALU_DEP_2)
	v_add_f32_e32 v49, v53, v49
	v_add_f32_e32 v74, v85, v74
	v_fmac_f32_e32 v75, 0xbf4178ce, v50
	s_delay_alu instid0(VALU_DEP_4) | instskip(NEXT) | instid1(VALU_DEP_2)
	v_dual_mul_f32 v85, 0xbf4178ce, v46 :: v_dual_add_f32 v2, v2, v16
	v_dual_add_f32 v3, v1, v3 :: v_dual_add_f32 v72, v75, v72
	s_delay_alu instid0(VALU_DEP_2) | instskip(SKIP_1) | instid1(VALU_DEP_2)
	v_dual_add_f32 v75, v0, v84 :: v_dual_add_f32 v2, v2, v18
	v_mul_f32_e32 v18, 0xbf68dda4, v43
	v_dual_add_f32 v77, v77, v75 :: v_dual_add_f32 v2, v2, v12
	s_delay_alu instid0(VALU_DEP_4) | instskip(NEXT) | instid1(VALU_DEP_3)
	v_add_f32_e32 v3, v3, v17
	v_fma_f32 v12, 0x3ed4b147, v33, -v18
	v_fmac_f32_e32 v18, 0x3ed4b147, v33
	s_delay_alu instid0(VALU_DEP_4) | instskip(SKIP_2) | instid1(VALU_DEP_1)
	v_add_f32_e32 v77, v86, v77
	v_add_f32_e32 v2, v2, v14
	v_dual_add_f32 v82, v82, v72 :: v_dual_add_f32 v3, v3, v19
	v_dual_add_f32 v2, v2, v8 :: v_dual_add_f32 v75, v83, v82
	v_mul_f32_e32 v82, 0x3f7d64f0, v47
	v_fma_f32 v83, 0x3ed4b147, v38, -v88
	v_add_f32_e32 v73, v89, v73
	s_delay_alu instid0(VALU_DEP_4) | instskip(NEXT) | instid1(VALU_DEP_4)
	v_dual_mul_f32 v89, 0x3f7d64f0, v43 :: v_dual_add_f32 v2, v2, v10
	v_fmamk_f32 v86, v34, 0xbe11bafb, v82
	v_mul_f32_e32 v87, 0xbf7d64f0, v48
	v_add_f32_e32 v77, v83, v77
	s_delay_alu instid0(VALU_DEP_4) | instskip(SKIP_4) | instid1(VALU_DEP_4)
	v_fma_f32 v91, 0xbe11bafb, v33, -v89
	v_fma_f32 v8, 0xbf27a4f4, v35, -v85
	;; [unrolled: 1-line block ×3, first 2 shown]
	v_fmamk_f32 v84, v41, 0xbe11bafb, v87
	v_add_f32_e32 v2, v2, v4
	v_add_f32_e32 v8, v1, v8
	s_delay_alu instid0(VALU_DEP_3)
	v_add_f32_e32 v72, v84, v74
	v_mul_f32_e32 v84, 0xbf4178ce, v40
	v_fmamk_f32 v74, v35, 0xbf27a4f4, v85
	v_mul_f32_e32 v40, 0xbf0a6770, v40
	v_add_f32_e32 v4, v10, v8
	v_add_f32_e32 v6, v2, v6
	v_fma_f32 v83, 0xbf27a4f4, v32, -v84
	v_add_f32_e32 v74, v1, v74
	v_fma_f32 v17, 0x3f575c64, v32, -v40
	v_fmac_f32_e32 v84, 0xbf27a4f4, v32
	s_delay_alu instid0(VALU_DEP_4)
	v_dual_fmac_f32 v40, 0x3f575c64, v32 :: v_dual_add_f32 v83, v0, v83
	v_mul_f32_e32 v88, 0xbf0a6770, v50
	v_add_f32_e32 v74, v86, v74
	v_fma_f32 v87, 0xbe11bafb, v41, -v87
	v_add_f32_e32 v17, v0, v17
	v_add_f32_e32 v83, v91, v83
	v_fma_f32 v91, 0x3f575c64, v36, -v92
	v_fmamk_f32 v86, v37, 0x3f575c64, v88
	s_delay_alu instid0(VALU_DEP_4) | instskip(SKIP_1) | instid1(VALU_DEP_3)
	v_dual_mul_f32 v19, 0xbe903f40, v52 :: v_dual_add_f32 v12, v12, v17
	v_add_f32_e32 v3, v3, v13
	v_dual_add_f32 v83, v91, v83 :: v_dual_add_f32 v86, v86, v74
	v_mul_f32_e32 v90, 0xbe903f40, v55
	v_add_f32_e32 v74, v87, v77
	v_fma_f32 v87, 0xbf75a155, v38, -v94
	v_mul_f32_e32 v13, 0xbf7d64f0, v44
	v_fmamk_f32 v43, v42, 0xbf75a155, v19
	v_fmamk_f32 v93, v39, 0xbf75a155, v90
	v_fma_f32 v8, 0x3f575c64, v37, -v88
	v_add_f32_e32 v83, v87, v83
	v_mul_f32_e32 v91, 0x3f68dda4, v48
	v_fma_f32 v14, 0xbe11bafb, v36, -v13
	v_dual_add_f32 v77, v93, v86 :: v_dual_mul_f32 v86, 0x3f68dda4, v52
	v_mul_f32_e32 v93, 0xbf75a155, v34
	s_delay_alu instid0(VALU_DEP_4) | instskip(NEXT) | instid1(VALU_DEP_4)
	v_fma_f32 v87, 0x3ed4b147, v41, -v91
	v_dual_add_f32 v12, v14, v12 :: v_dual_add_f32 v15, v3, v15
	v_mul_f32_e32 v14, 0xbf4178ce, v45
	v_fmamk_f32 v76, v42, 0x3ed4b147, v86
	v_add_f32_e32 v68, v68, v93
	v_mul_f32_e32 v93, 0x3ed4b147, v37
	v_add_f32_e32 v9, v15, v9
	v_fmac_f32_e32 v89, 0xbe11bafb, v33
	v_dual_add_f32 v77, v76, v77 :: v_dual_add_f32 v76, v87, v83
	v_mul_f32_e32 v83, 0xbf27a4f4, v34
	v_dual_mul_f32 v87, 0xbf75a155, v33 :: v_dual_add_f32 v60, v68, v60
	v_dual_add_f32 v68, v69, v93 :: v_dual_mul_f32 v93, 0x3f575c64, v39
	s_delay_alu instid0(VALU_DEP_2) | instskip(NEXT) | instid1(VALU_DEP_2)
	v_dual_mul_f32 v69, 0xbf75a155, v36 :: v_dual_sub_f32 v62, v87, v62
	v_dual_mul_f32 v87, 0xbe11bafb, v38 :: v_dual_add_f32 v60, v68, v60
	s_delay_alu instid0(VALU_DEP_3) | instskip(NEXT) | instid1(VALU_DEP_3)
	v_dual_mul_f32 v68, 0x3ed4b147, v36 :: v_dual_add_f32 v71, v71, v93
	v_dual_mul_f32 v93, 0xbe11bafb, v39 :: v_dual_add_f32 v56, v62, v56
	v_mul_f32_e32 v62, 0x3f575c64, v41
	s_delay_alu instid0(VALU_DEP_3) | instskip(NEXT) | instid1(VALU_DEP_4)
	v_sub_f32_e32 v64, v68, v64
	v_dual_add_f32 v60, v71, v60 :: v_dual_mul_f32 v71, 0x3f575c64, v38
	v_mul_f32_e32 v68, 0x3f575c64, v42
	v_dual_add_f32 v58, v58, v83 :: v_dual_mul_f32 v83, 0xbf27a4f4, v41
	s_delay_alu instid0(VALU_DEP_4) | instskip(NEXT) | instid1(VALU_DEP_4)
	v_add_f32_e32 v56, v64, v56
	v_sub_f32_e32 v64, v71, v66
	s_delay_alu instid0(VALU_DEP_3) | instskip(SKIP_1) | instid1(VALU_DEP_3)
	v_dual_sub_f32 v53, v69, v54 :: v_dual_add_f32 v58, v58, v51
	v_dual_add_f32 v51, v70, v60 :: v_dual_mul_f32 v60, 0xbf0a6770, v46
	v_add_f32_e32 v56, v64, v56
	s_delay_alu instid0(VALU_DEP_3) | instskip(NEXT) | instid1(VALU_DEP_4)
	v_dual_sub_f32 v46, v83, v67 :: v_dual_add_f32 v49, v53, v49
	v_dual_add_f32 v57, v57, v58 :: v_dual_add_f32 v58, v63, v93
	v_sub_f32_e32 v53, v87, v59
	s_delay_alu instid0(VALU_DEP_3) | instskip(NEXT) | instid1(VALU_DEP_3)
	v_dual_mul_f32 v63, 0xbf7d64f0, v50 :: v_dual_add_f32 v50, v46, v56
	v_dual_add_f32 v9, v9, v11 :: v_dual_add_f32 v54, v58, v57
	v_dual_mul_f32 v58, 0xbf68dda4, v47 :: v_dual_add_f32 v47, v65, v68
	s_delay_alu instid0(VALU_DEP_4) | instskip(NEXT) | instid1(VALU_DEP_3)
	v_dual_fmamk_f32 v57, v35, 0x3f575c64, v60 :: v_dual_add_f32 v46, v53, v49
	v_add_f32_e32 v5, v9, v5
	v_fma_f32 v11, 0xbf27a4f4, v38, -v14
	s_delay_alu instid0(VALU_DEP_4) | instskip(SKIP_4) | instid1(VALU_DEP_4)
	v_dual_add_f32 v47, v47, v54 :: v_dual_mul_f32 v54, 0xbf4178ce, v55
	v_sub_f32_e32 v55, v62, v61
	v_add_f32_e32 v57, v1, v57
	v_fmamk_f32 v59, v34, 0x3ed4b147, v58
	v_fmamk_f32 v53, v37, 0xbe11bafb, v63
	v_dual_add_f32 v5, v5, v7 :: v_dual_add_f32 v46, v55, v46
	v_add_f32_e32 v7, v8, v4
	s_delay_alu instid0(VALU_DEP_4) | instskip(SKIP_3) | instid1(VALU_DEP_4)
	v_add_f32_e32 v49, v59, v57
	v_fma_f32 v8, 0xbf75a155, v39, -v90
	v_add_f32_e32 v9, v11, v12
	v_dual_add_f32 v4, v6, v28 :: v_dual_add_f32 v5, v5, v29
	v_add_f32_e32 v49, v53, v49
	s_delay_alu instid0(VALU_DEP_4) | instskip(SKIP_3) | instid1(VALU_DEP_4)
	v_dual_fmamk_f32 v53, v39, 0xbf27a4f4, v54 :: v_dual_add_f32 v6, v8, v7
	v_mul_f32_e32 v15, 0xbe903f40, v48
	v_fma_f32 v7, 0x3f575c64, v35, -v60
	v_fmac_f32_e32 v91, 0x3ed4b147, v41
	v_add_f32_e32 v16, v53, v49
	v_fma_f32 v8, 0x3ed4b147, v42, -v86
	v_mad_u32_u24 v12, 0x50, v20, v30
	v_fma_f32 v10, 0xbf75a155, v41, -v15
	v_dual_add_f32 v1, v1, v7 :: v_dual_fmac_f32 v92, 0x3f575c64, v36
	v_add_f32_e32 v3, v43, v16
	v_fma_f32 v7, 0x3ed4b147, v34, -v58
	s_delay_alu instid0(VALU_DEP_4) | instskip(SKIP_3) | instid1(VALU_DEP_4)
	v_dual_add_f32 v2, v10, v9 :: v_dual_add_f32 v9, v0, v84
	v_fmac_f32_e32 v94, 0xbf75a155, v38
	v_dual_add_f32 v0, v0, v40 :: v_dual_fmac_f32 v15, 0xbf75a155, v41
	v_fma_f32 v10, 0xbf75a155, v42, -v19
	v_dual_add_f32 v9, v89, v9 :: v_dual_fmac_f32 v14, 0xbf27a4f4, v38
	s_delay_alu instid0(VALU_DEP_1) | instskip(NEXT) | instid1(VALU_DEP_1)
	v_dual_add_f32 v0, v18, v0 :: v_dual_add_f32 v9, v92, v9
	v_add_f32_e32 v9, v94, v9
	v_fmac_f32_e32 v13, 0xbe11bafb, v36
	v_add_f32_e32 v1, v7, v1
	v_fma_f32 v7, 0xbe11bafb, v37, -v63
	s_delay_alu instid0(VALU_DEP_1) | instskip(SKIP_1) | instid1(VALU_DEP_2)
	v_dual_add_f32 v0, v13, v0 :: v_dual_add_f32 v1, v7, v1
	v_fma_f32 v7, 0xbf27a4f4, v39, -v54
	v_add_f32_e32 v11, v14, v0
	s_delay_alu instid0(VALU_DEP_2) | instskip(NEXT) | instid1(VALU_DEP_2)
	v_add_f32_e32 v7, v7, v1
	v_dual_add_f32 v1, v8, v6 :: v_dual_add_f32 v6, v15, v11
	s_delay_alu instid0(VALU_DEP_2)
	v_dual_add_f32 v0, v91, v9 :: v_dual_add_f32 v7, v10, v7
	ds_store_2addr_b64 v12, v[4:5], v[2:3] offset1:1
	ds_store_2addr_b64 v12, v[46:47], v[50:51] offset0:2 offset1:3
	ds_store_2addr_b64 v12, v[76:77], v[74:75] offset0:4 offset1:5
	;; [unrolled: 1-line block ×4, first 2 shown]
	ds_store_b64 v12, v[6:7] offset:80
.LBB0_13:
	s_wait_alu 0xfffe
	s_or_b32 exec_lo, exec_lo, s1
	v_and_b32_e32 v28, 0xff, v20
	v_add_nc_u32_e32 v2, 0x1ef, v20
	v_add_nc_u32_e32 v18, 0xa5, v20
	;; [unrolled: 1-line block ×3, first 2 shown]
	global_wb scope:SCOPE_SE
	s_wait_dscnt 0x0
	v_mul_lo_u16 v0, 0x75, v28
	s_barrier_signal -1
	v_and_b32_e32 v19, 0xffff, v18
	v_and_b32_e32 v3, 0xffff, v16
	s_barrier_wait -1
	v_lshrrev_b16 v0, 8, v0
	global_inv scope:SCOPE_SE
	v_mul_u32_u24_e32 v17, 0xba2f, v19
	v_mul_u32_u24_e32 v29, 0xba2f, v3
	v_cmp_gt_u32_e64 s0, 0x6e, v20
	v_sub_nc_u16 v1, v20, v0
	s_delay_alu instid0(VALU_DEP_4) | instskip(NEXT) | instid1(VALU_DEP_4)
	v_lshrrev_b32_e32 v33, 19, v17
	v_lshrrev_b32_e32 v34, 19, v29
	s_delay_alu instid0(VALU_DEP_3) | instskip(NEXT) | instid1(VALU_DEP_3)
	v_lshrrev_b16 v1, 1, v1
	v_mul_u32_u24_e32 v45, 0xb0, v33
	s_delay_alu instid0(VALU_DEP_3) | instskip(SKIP_1) | instid1(VALU_DEP_4)
	v_mul_lo_u16 v3, v34, 11
	v_mul_u32_u24_e32 v46, 0xb0, v34
	v_and_b32_e32 v1, 0x7f, v1
	s_delay_alu instid0(VALU_DEP_3) | instskip(NEXT) | instid1(VALU_DEP_2)
	v_sub_nc_u16 v3, v16, v3
	v_add_nc_u16 v0, v1, v0
	v_and_b32_e32 v1, 0xffff, v2
	s_delay_alu instid0(VALU_DEP_3) | instskip(NEXT) | instid1(VALU_DEP_3)
	v_and_b32_e32 v3, 0xffff, v3
	v_lshrrev_b16 v32, 3, v0
	s_delay_alu instid0(VALU_DEP_3) | instskip(NEXT) | instid1(VALU_DEP_3)
	v_mul_u32_u24_e32 v0, 0xba2f, v1
	v_lshlrev_b32_e32 v42, 3, v3
	s_delay_alu instid0(VALU_DEP_3) | instskip(NEXT) | instid1(VALU_DEP_3)
	v_mul_lo_u16 v1, v32, 11
	v_lshrrev_b32_e32 v39, 19, v0
	v_mul_lo_u16 v0, v33, 11
	v_and_b32_e32 v47, 0xffff, v32
	s_delay_alu instid0(VALU_DEP_4) | instskip(NEXT) | instid1(VALU_DEP_4)
	v_sub_nc_u16 v1, v20, v1
	v_mul_lo_u16 v4, v39, 11
	s_delay_alu instid0(VALU_DEP_4) | instskip(SKIP_1) | instid1(VALU_DEP_4)
	v_sub_nc_u16 v0, v18, v0
	v_mul_u32_u24_e32 v39, 0xb0, v39
	v_and_b32_e32 v1, 0xff, v1
	s_delay_alu instid0(VALU_DEP_4) | instskip(NEXT) | instid1(VALU_DEP_2)
	v_sub_nc_u16 v2, v2, v4
	v_lshlrev_b32_e32 v40, 3, v1
	s_delay_alu instid0(VALU_DEP_2) | instskip(SKIP_3) | instid1(VALU_DEP_2)
	v_and_b32_e32 v1, 0xffff, v2
	global_load_b64 v[12:13], v40, s[4:5]
	v_and_b32_e32 v0, 0xffff, v0
	v_lshlrev_b32_e32 v43, 3, v1
	v_lshlrev_b32_e32 v41, 3, v0
	s_delay_alu instid0(VALU_DEP_2)
	v_add3_u32 v39, 0, v39, v43
	s_clause 0x2
	global_load_b64 v[14:15], v41, s[4:5]
	global_load_b64 v[35:36], v42, s[4:5]
	;; [unrolled: 1-line block ×3, first 2 shown]
	v_add_nc_u32_e32 v8, 0x1e00, v30
	ds_load_2addr_b64 v[0:3], v31 offset0:20 offset1:185
	ds_load_2addr_b64 v[4:7], v30 offset1:165
	ds_load_2addr_b64 v[8:11], v8 offset0:30 offset1:195
	v_add_nc_u32_e32 v31, 0x800, v30
	v_add3_u32 v41, 0, v45, v41
	v_mul_u32_u24_e32 v45, 0xb0, v47
	ds_load_2addr_b64 v[31:34], v31 offset0:74 offset1:239
	global_wb scope:SCOPE_SE
	s_wait_loadcnt_dscnt 0x0
	s_barrier_signal -1
	s_barrier_wait -1
	global_inv scope:SCOPE_SE
	v_mul_f32_e32 v43, v13, v1
	v_mul_f32_e32 v13, v13, v0
	v_add3_u32 v40, 0, v45, v40
	s_delay_alu instid0(VALU_DEP_3) | instskip(NEXT) | instid1(VALU_DEP_3)
	v_fma_f32 v0, v12, v0, -v43
	v_fmac_f32_e32 v13, v12, v1
	v_mul_f32_e32 v45, v15, v3
	v_mul_f32_e32 v15, v15, v2
	s_delay_alu instid0(VALU_DEP_3) | instskip(SKIP_2) | instid1(VALU_DEP_4)
	v_sub_f32_e32 v1, v5, v13
	v_add3_u32 v42, 0, v46, v42
	v_mul_f32_e32 v46, v36, v9
	v_dual_mul_f32 v36, v36, v8 :: v_dual_fmac_f32 v15, v14, v3
	v_mul_f32_e32 v47, v38, v11
	v_mul_f32_e32 v38, v38, v10
	v_fma_f32 v2, v14, v2, -v45
	v_fma_f32 v8, v35, v8, -v46
	v_fmac_f32_e32 v36, v35, v9
	v_fma_f32 v10, v37, v10, -v47
	v_fmac_f32_e32 v38, v37, v11
	v_sub_f32_e32 v0, v4, v0
	v_dual_sub_f32 v3, v7, v15 :: v_dual_add_nc_u32 v44, 0x1a00, v30
	v_sub_f32_e32 v2, v6, v2
	v_sub_f32_e32 v8, v31, v8
	v_dual_sub_f32 v9, v32, v36 :: v_dual_sub_f32 v14, v33, v10
	v_sub_f32_e32 v15, v34, v38
	v_fma_f32 v4, v4, 2.0, -v0
	v_fma_f32 v5, v5, 2.0, -v1
	;; [unrolled: 1-line block ×8, first 2 shown]
	ds_store_2addr_b64 v40, v[4:5], v[0:1] offset1:11
	ds_store_2addr_b64 v41, v[6:7], v[2:3] offset1:11
	;; [unrolled: 1-line block ×4, first 2 shown]
	global_wb scope:SCOPE_SE
	s_wait_dscnt 0x0
	s_barrier_signal -1
	s_barrier_wait -1
	global_inv scope:SCOPE_SE
	ds_load_2addr_b64 v[0:3], v30 offset1:165
	ds_load_2addr_b64 v[8:11], v21 offset0:56 offset1:221
	ds_load_2addr_b64 v[4:7], v44 offset0:48 offset1:213
	s_and_saveexec_b32 s1, s0
	s_cbranch_execz .LBB0_15
; %bb.14:
	ds_load_b64 v[12:13], v30 offset:2640
	ds_load_b64 v[14:15], v30 offset:6160
	;; [unrolled: 1-line block ×3, first 2 shown]
.LBB0_15:
	s_wait_alu 0xfffe
	s_or_b32 exec_lo, exec_lo, s1
	v_lshrrev_b32_e32 v21, 20, v29
	v_lshrrev_b32_e32 v17, 20, v17
	v_lshrrev_b16 v29, 1, v20
	s_delay_alu instid0(VALU_DEP_3) | instskip(NEXT) | instid1(VALU_DEP_3)
	v_mul_lo_u16 v31, v21, 22
	v_mul_lo_u16 v36, v17, 22
	v_mul_u32_u24_e32 v17, 0x210, v17
	s_delay_alu instid0(VALU_DEP_3) | instskip(NEXT) | instid1(VALU_DEP_3)
	v_sub_nc_u16 v16, v16, v31
	v_sub_nc_u16 v36, v18, v36
	s_delay_alu instid0(VALU_DEP_2) | instskip(NEXT) | instid1(VALU_DEP_2)
	v_and_b32_e32 v16, 0xffff, v16
	v_and_b32_e32 v44, 0xffff, v36
	s_delay_alu instid0(VALU_DEP_2) | instskip(SKIP_4) | instid1(VALU_DEP_1)
	v_lshlrev_b32_e32 v31, 4, v16
	global_load_b128 v[31:34], v31, s[4:5] offset:88
	v_and_b32_e32 v29, 0x7f, v29
	v_lshlrev_b32_e32 v39, 4, v44
	v_lshlrev_b32_e32 v44, 3, v44
	v_add3_u32 v17, 0, v17, v44
	s_wait_loadcnt_dscnt 0x1
	v_mul_f32_e32 v44, v15, v32
	v_mul_lo_u16 v29, 0xbb, v29
	s_wait_dscnt 0x0
	v_mul_f32_e32 v45, v27, v34
	v_mul_f32_e32 v34, v26, v34
	;; [unrolled: 1-line block ×3, first 2 shown]
	v_fma_f32 v14, v14, v31, -v44
	v_lshrrev_b16 v29, 11, v29
	s_delay_alu instid0(VALU_DEP_4) | instskip(NEXT) | instid1(VALU_DEP_4)
	v_fmac_f32_e32 v34, v27, v33
	v_fmac_f32_e32 v32, v15, v31
	v_fma_f32 v15, v26, v33, -v45
	s_delay_alu instid0(VALU_DEP_4) | instskip(SKIP_1) | instid1(VALU_DEP_4)
	v_mul_lo_u16 v35, v29, 22
	v_dual_add_f32 v26, v12, v14 :: v_dual_and_b32 v29, 0xffff, v29
	v_sub_f32_e32 v31, v32, v34
	s_delay_alu instid0(VALU_DEP_4) | instskip(NEXT) | instid1(VALU_DEP_4)
	v_add_f32_e32 v27, v14, v15
	v_sub_nc_u16 v35, v20, v35
	s_delay_alu instid0(VALU_DEP_4) | instskip(NEXT) | instid1(VALU_DEP_2)
	v_mul_u32_u24_e32 v29, 0x210, v29
	v_and_b32_e32 v43, 0xff, v35
	s_delay_alu instid0(VALU_DEP_1)
	v_lshlrev_b32_e32 v35, 4, v43
	s_clause 0x1
	global_load_b128 v[35:38], v35, s[4:5] offset:88
	global_load_b128 v[39:42], v39, s[4:5] offset:88
	v_lshlrev_b32_e32 v43, 3, v43
	v_dual_add_f32 v33, v13, v32 :: v_dual_add_f32 v32, v32, v34
	global_wb scope:SCOPE_SE
	s_wait_loadcnt 0x0
	s_barrier_signal -1
	v_add3_u32 v29, 0, v29, v43
	v_sub_f32_e32 v43, v14, v15
	s_barrier_wait -1
	global_inv scope:SCOPE_SE
	v_dual_fmac_f32 v13, -0.5, v32 :: v_dual_mul_f32 v44, v36, v9
	v_dual_mul_f32 v36, v36, v8 :: v_dual_mul_f32 v45, v38, v5
	v_mul_f32_e32 v46, v40, v11
	v_dual_mul_f32 v40, v40, v10 :: v_dual_mul_f32 v47, v42, v7
	v_mul_f32_e32 v38, v38, v4
	v_mul_f32_e32 v42, v42, v6
	s_delay_alu instid0(VALU_DEP_4) | instskip(NEXT) | instid1(VALU_DEP_4)
	v_fma_f32 v10, v39, v10, -v46
	v_fmac_f32_e32 v40, v39, v11
	v_fma_f32 v11, v41, v6, -v47
	v_fmac_f32_e32 v36, v35, v9
	v_dual_add_f32 v14, v26, v15 :: v_dual_add_f32 v15, v33, v34
	v_fma_f32 v8, v35, v8, -v44
	v_fma_f32 v9, v37, v4, -v45
	v_fmac_f32_e32 v12, -0.5, v27
	v_add_f32_e32 v33, v10, v11
	v_add_f32_e32 v27, v36, v1
	v_dual_fmac_f32 v38, v37, v5 :: v_dual_add_f32 v35, v3, v40
	v_dual_fmac_f32 v42, v41, v7 :: v_dual_add_f32 v7, v8, v9
	v_dual_fmamk_f32 v4, v31, 0x3f5db3d7, v12 :: v_dual_sub_f32 v37, v10, v11
	v_fmac_f32_e32 v12, 0xbf5db3d7, v31
	s_delay_alu instid0(VALU_DEP_4)
	v_sub_f32_e32 v26, v36, v38
	v_add_f32_e32 v31, v36, v38
	v_add_f32_e32 v36, v40, v42
	;; [unrolled: 1-line block ×3, first 2 shown]
	v_fma_f32 v0, -0.5, v7, v0
	v_add_f32_e32 v7, v27, v38
	v_fma_f32 v1, -0.5, v31, v1
	v_dual_fmac_f32 v3, -0.5, v36 :: v_dual_sub_f32 v32, v8, v9
	v_dual_fmamk_f32 v5, v43, 0xbf5db3d7, v13 :: v_dual_add_f32 v6, v6, v9
	v_fmac_f32_e32 v13, 0x3f5db3d7, v43
	s_delay_alu instid0(VALU_DEP_3)
	v_dual_fmamk_f32 v27, v37, 0xbf5db3d7, v3 :: v_dual_add_f32 v8, v2, v10
	v_sub_f32_e32 v34, v40, v42
	v_fma_f32 v2, -0.5, v33, v2
	v_fmamk_f32 v10, v26, 0x3f5db3d7, v0
	v_fmac_f32_e32 v0, 0xbf5db3d7, v26
	v_add_f32_e32 v8, v8, v11
	v_fmamk_f32 v11, v32, 0xbf5db3d7, v1
	v_dual_fmac_f32 v1, 0x3f5db3d7, v32 :: v_dual_fmamk_f32 v26, v34, 0x3f5db3d7, v2
	v_fmac_f32_e32 v2, 0xbf5db3d7, v34
	v_fmac_f32_e32 v3, 0x3f5db3d7, v37
	v_add_f32_e32 v9, v35, v42
	ds_store_2addr_b64 v29, v[6:7], v[10:11] offset1:22
	ds_store_b64 v29, v[0:1] offset:352
	ds_store_2addr_b64 v17, v[8:9], v[26:27] offset1:22
	ds_store_b64 v17, v[2:3] offset:352
	s_and_saveexec_b32 s1, s0
	s_cbranch_execz .LBB0_17
; %bb.16:
	v_mul_lo_u16 v0, 0x42, v21
	v_lshlrev_b32_e32 v1, 3, v16
	s_delay_alu instid0(VALU_DEP_2) | instskip(NEXT) | instid1(VALU_DEP_1)
	v_and_b32_e32 v0, 0xffff, v0
	v_lshlrev_b32_e32 v0, 3, v0
	s_delay_alu instid0(VALU_DEP_1)
	v_add3_u32 v0, 0, v1, v0
	ds_store_2addr_b64 v0, v[14:15], v[4:5] offset1:22
	ds_store_b64 v0, v[12:13] offset:352
.LBB0_17:
	s_wait_alu 0xfffe
	s_or_b32 exec_lo, exec_lo, s1
	global_wb scope:SCOPE_SE
	s_wait_dscnt 0x0
	s_barrier_signal -1
	s_barrier_wait -1
	global_inv scope:SCOPE_SE
	ds_load_b64 v[0:1], v30
	ds_load_b64 v[16:17], v30 offset:2112
	ds_load_b64 v[10:11], v30 offset:4224
	;; [unrolled: 1-line block ×4, first 2 shown]
	v_cmp_gt_u32_e64 s0, 0x63, v20
	s_delay_alu instid0(VALU_DEP_1)
	s_and_saveexec_b32 s1, s0
	s_cbranch_execz .LBB0_19
; %bb.18:
	ds_load_b64 v[2:3], v30 offset:1320
	ds_load_b64 v[14:15], v30 offset:3432
	;; [unrolled: 1-line block ×5, first 2 shown]
.LBB0_19:
	s_wait_alu 0xfffe
	s_or_b32 exec_lo, exec_lo, s1
	v_mul_lo_u16 v21, 0xf9, v28
	s_delay_alu instid0(VALU_DEP_1) | instskip(NEXT) | instid1(VALU_DEP_1)
	v_lshrrev_b16 v21, 14, v21
	v_mul_lo_u16 v26, 0x42, v21
	s_delay_alu instid0(VALU_DEP_1) | instskip(NEXT) | instid1(VALU_DEP_1)
	v_sub_nc_u16 v26, v20, v26
	v_and_b32_e32 v35, 0xff, v26
	s_delay_alu instid0(VALU_DEP_1)
	v_lshlrev_b32_e32 v31, 5, v35
	s_clause 0x1
	global_load_b128 v[26:29], v31, s[4:5] offset:440
	global_load_b128 v[31:34], v31, s[4:5] offset:456
	v_and_b32_e32 v21, 0xffff, v21
	global_wb scope:SCOPE_SE
	s_wait_loadcnt_dscnt 0x0
	s_barrier_signal -1
	s_barrier_wait -1
	global_inv scope:SCOPE_SE
	v_mul_f32_e32 v36, v29, v11
	v_dual_mul_f32 v38, v34, v9 :: v_dual_lshlrev_b32 v35, 3, v35
	v_mul_f32_e32 v34, v34, v8
	v_mul_u32_u24_e32 v21, 0xa50, v21
	s_delay_alu instid0(VALU_DEP_2) | instskip(NEXT) | instid1(VALU_DEP_2)
	v_fmac_f32_e32 v34, v33, v9
	v_add3_u32 v21, 0, v21, v35
	v_mul_f32_e32 v35, v27, v17
	v_mul_f32_e32 v27, v27, v16
	s_delay_alu instid0(VALU_DEP_2) | instskip(NEXT) | instid1(VALU_DEP_2)
	v_fma_f32 v16, v26, v16, -v35
	v_fmac_f32_e32 v27, v26, v17
	v_mul_f32_e32 v37, v32, v7
	v_mul_f32_e32 v32, v32, v6
	;; [unrolled: 1-line block ×3, first 2 shown]
	v_fma_f32 v10, v28, v10, -v36
	v_fma_f32 v17, v33, v8, -v38
	s_delay_alu instid0(VALU_DEP_4) | instskip(NEXT) | instid1(VALU_DEP_4)
	v_fmac_f32_e32 v32, v31, v7
	v_fmac_f32_e32 v29, v28, v11
	s_delay_alu instid0(VALU_DEP_4) | instskip(NEXT) | instid1(VALU_DEP_4)
	v_sub_f32_e32 v8, v16, v10
	v_sub_f32_e32 v38, v16, v17
	s_delay_alu instid0(VALU_DEP_4) | instskip(NEXT) | instid1(VALU_DEP_4)
	v_sub_f32_e32 v40, v34, v32
	v_sub_f32_e32 v28, v29, v32
	;; [unrolled: 1-line block ×3, first 2 shown]
	v_fma_f32 v11, v31, v6, -v37
	v_add_f32_e32 v6, v0, v16
	v_dual_add_f32 v31, v16, v17 :: v_dual_add_f32 v36, v1, v27
	v_dual_sub_f32 v33, v10, v16 :: v_dual_sub_f32 v16, v27, v29
	s_delay_alu instid0(VALU_DEP_4)
	v_add_f32_e32 v7, v10, v11
	v_sub_f32_e32 v9, v17, v11
	v_add_f32_e32 v37, v29, v32
	v_sub_f32_e32 v39, v10, v11
	v_add_f32_e32 v10, v6, v10
	v_fma_f32 v6, -0.5, v7, v0
	v_add_f32_e32 v41, v27, v34
	v_sub_f32_e32 v27, v29, v27
	v_fma_f32 v0, -0.5, v31, v0
	s_delay_alu instid0(VALU_DEP_4) | instskip(SKIP_3) | instid1(VALU_DEP_4)
	v_dual_add_f32 v43, v8, v9 :: v_dual_fmamk_f32 v8, v26, 0x3f737871, v6
	v_dual_sub_f32 v35, v11, v17 :: v_dual_sub_f32 v42, v32, v34
	v_add_f32_e32 v9, v36, v29
	v_fma_f32 v7, -0.5, v37, v1
	v_fmac_f32_e32 v8, 0x3f167918, v28
	v_dual_add_f32 v29, v16, v40 :: v_dual_add_f32 v16, v10, v11
	s_delay_alu instid0(VALU_DEP_4) | instskip(SKIP_3) | instid1(VALU_DEP_4)
	v_dual_fmac_f32 v1, -0.5, v41 :: v_dual_add_f32 v32, v9, v32
	v_dual_add_f32 v31, v33, v35 :: v_dual_fmamk_f32 v10, v28, 0xbf737871, v0
	v_fmac_f32_e32 v0, 0x3f737871, v28
	v_dual_fmamk_f32 v9, v38, 0xbf737871, v7 :: v_dual_fmac_f32 v6, 0xbf737871, v26
	v_fmamk_f32 v11, v39, 0x3f737871, v1
	v_fmac_f32_e32 v1, 0xbf737871, v39
	v_fmac_f32_e32 v7, 0x3f737871, v38
	s_delay_alu instid0(VALU_DEP_4)
	v_dual_fmac_f32 v0, 0xbf167918, v26 :: v_dual_fmac_f32 v9, 0xbf167918, v39
	v_dual_add_f32 v27, v27, v42 :: v_dual_add_f32 v16, v16, v17
	v_fmac_f32_e32 v10, 0x3f167918, v26
	v_fmac_f32_e32 v11, 0xbf167918, v38
	;; [unrolled: 1-line block ×3, first 2 shown]
	v_dual_fmac_f32 v6, 0xbf167918, v28 :: v_dual_add_f32 v17, v32, v34
	v_fmac_f32_e32 v7, 0x3f167918, v39
	v_dual_fmac_f32 v8, 0x3e9e377a, v43 :: v_dual_fmac_f32 v9, 0x3e9e377a, v29
	v_fmac_f32_e32 v10, 0x3e9e377a, v31
	v_fmac_f32_e32 v0, 0x3e9e377a, v31
	;; [unrolled: 1-line block ×4, first 2 shown]
	v_dual_fmac_f32 v6, 0x3e9e377a, v43 :: v_dual_fmac_f32 v7, 0x3e9e377a, v29
	ds_store_2addr_b64 v21, v[16:17], v[8:9] offset1:66
	ds_store_2addr_b64 v21, v[10:11], v[0:1] offset0:132 offset1:198
	ds_store_b64 v21, v[6:7] offset:2112
	s_and_saveexec_b32 s1, s0
	s_cbranch_execz .LBB0_21
; %bb.20:
	v_mul_u32_u24_e32 v0, 0xf83f, v19
	s_delay_alu instid0(VALU_DEP_1) | instskip(NEXT) | instid1(VALU_DEP_1)
	v_lshrrev_b32_e32 v0, 22, v0
	v_mul_lo_u16 v1, 0x42, v0
	v_mul_lo_u16 v0, 0x14a, v0
	s_delay_alu instid0(VALU_DEP_2) | instskip(NEXT) | instid1(VALU_DEP_1)
	v_sub_nc_u16 v1, v18, v1
	v_and_b32_e32 v1, 0xffff, v1
	s_delay_alu instid0(VALU_DEP_1)
	v_lshlrev_b32_e32 v10, 5, v1
	s_clause 0x1
	global_load_b128 v[6:9], v10, s[4:5] offset:440
	global_load_b128 v[16:19], v10, s[4:5] offset:456
	v_and_b32_e32 v0, 0xffff, v0
	v_lshlrev_b32_e32 v1, 3, v1
	s_wait_loadcnt 0x1
	s_delay_alu instid0(VALU_DEP_2) | instskip(SKIP_3) | instid1(VALU_DEP_3)
	v_dual_mul_f32 v11, v4, v9 :: v_dual_lshlrev_b32 v0, 3, v0
	s_wait_loadcnt 0x0
	v_mul_f32_e32 v26, v12, v17
	v_mul_f32_e32 v21, v24, v19
	v_fmac_f32_e32 v11, v5, v8
	v_add3_u32 v10, 0, v1, v0
	v_mul_f32_e32 v0, v14, v7
	v_mul_f32_e32 v1, v15, v7
	s_delay_alu instid0(VALU_DEP_2) | instskip(SKIP_2) | instid1(VALU_DEP_4)
	v_dual_mul_f32 v7, v25, v19 :: v_dual_fmac_f32 v0, v15, v6
	v_fmac_f32_e32 v26, v13, v16
	v_mul_f32_e32 v9, v5, v9
	v_fma_f32 v1, v14, v6, -v1
	v_fmac_f32_e32 v21, v25, v18
	v_add_f32_e32 v19, v3, v0
	s_delay_alu instid0(VALU_DEP_4)
	v_fma_f32 v4, v4, v8, -v9
	v_mul_f32_e32 v17, v13, v17
	v_fma_f32 v13, v24, v18, -v7
	v_add_f32_e32 v24, v2, v1
	v_add_f32_e32 v28, v0, v21
	v_sub_f32_e32 v29, v4, v1
	v_fma_f32 v6, v12, v16, -v17
	v_sub_f32_e32 v12, v1, v13
	v_add_f32_e32 v32, v1, v13
	s_delay_alu instid0(VALU_DEP_3) | instskip(SKIP_4) | instid1(VALU_DEP_4)
	v_add_f32_e32 v16, v4, v6
	v_dual_sub_f32 v5, v0, v11 :: v_dual_add_f32 v8, v11, v26
	v_dual_sub_f32 v9, v1, v4 :: v_dual_sub_f32 v18, v11, v26
	v_sub_f32_e32 v15, v13, v6
	v_sub_f32_e32 v25, v11, v0
	v_fma_f32 v1, -0.5, v8, v3
	v_dual_add_f32 v8, v24, v4 :: v_dual_sub_f32 v7, v21, v26
	v_dual_sub_f32 v31, v6, v13 :: v_dual_sub_f32 v14, v4, v6
	s_delay_alu instid0(VALU_DEP_2) | instskip(SKIP_2) | instid1(VALU_DEP_4)
	v_dual_sub_f32 v27, v26, v21 :: v_dual_add_f32 v8, v8, v6
	v_sub_f32_e32 v17, v0, v21
	v_fma_f32 v0, -0.5, v16, v2
	v_dual_add_f32 v16, v29, v31 :: v_dual_fmac_f32 v3, -0.5, v28
	s_delay_alu instid0(VALU_DEP_4)
	v_add_f32_e32 v8, v8, v13
	v_dual_fmac_f32 v2, -0.5, v32 :: v_dual_add_f32 v33, v5, v7
	v_add_f32_e32 v7, v19, v11
	v_fmamk_f32 v5, v12, 0xbf737871, v1
	v_fmamk_f32 v4, v17, 0x3f737871, v0
	v_dual_fmac_f32 v0, 0xbf737871, v17 :: v_dual_add_f32 v15, v9, v15
	v_fmamk_f32 v6, v18, 0x3f737871, v2
	v_fmac_f32_e32 v2, 0xbf737871, v18
	v_add_f32_e32 v9, v7, v26
	v_fmamk_f32 v7, v14, 0xbf737871, v3
	v_fmac_f32_e32 v3, 0x3f737871, v14
	v_fmac_f32_e32 v6, 0xbf167918, v17
	;; [unrolled: 1-line block ×3, first 2 shown]
	v_dual_add_f32 v11, v25, v27 :: v_dual_fmac_f32 v4, 0x3f167918, v18
	v_fmac_f32_e32 v5, 0xbf167918, v14
	v_dual_fmac_f32 v7, 0x3f167918, v12 :: v_dual_fmac_f32 v2, 0x3f167918, v17
	v_fmac_f32_e32 v3, 0xbf167918, v12
	v_dual_add_f32 v9, v9, v21 :: v_dual_fmac_f32 v0, 0xbf167918, v18
	v_fmac_f32_e32 v1, 0x3f167918, v14
	v_dual_fmac_f32 v5, 0x3e9e377a, v33 :: v_dual_fmac_f32 v4, 0x3e9e377a, v15
	v_dual_fmac_f32 v7, 0x3e9e377a, v11 :: v_dual_fmac_f32 v6, 0x3e9e377a, v16
	;; [unrolled: 1-line block ×3, first 2 shown]
	s_delay_alu instid0(VALU_DEP_4)
	v_dual_fmac_f32 v1, 0x3e9e377a, v33 :: v_dual_fmac_f32 v0, 0x3e9e377a, v15
	ds_store_2addr_b64 v10, v[8:9], v[4:5] offset1:66
	ds_store_2addr_b64 v10, v[2:3], v[6:7] offset0:132 offset1:198
	ds_store_b64 v10, v[0:1] offset:2112
.LBB0_21:
	s_wait_alu 0xfffe
	s_or_b32 exec_lo, exec_lo, s1
	v_mul_u32_u24_e32 v0, 3, v20
	global_wb scope:SCOPE_SE
	s_wait_dscnt 0x0
	s_barrier_signal -1
	s_barrier_wait -1
	global_inv scope:SCOPE_SE
	v_lshlrev_b32_e32 v8, 3, v0
	s_mov_b32 s1, exec_lo
	s_clause 0x3
	global_load_b128 v[0:3], v8, s[4:5] offset:2552
	global_load_b64 v[24:25], v8, s[4:5] offset:2568
	global_load_b128 v[4:7], v8, s[4:5] offset:6512
	global_load_b64 v[26:27], v8, s[4:5] offset:6528
	v_add_nc_u32_e32 v21, 0x800, v30
	v_add_nc_u32_e32 v33, 0x1400, v30
	ds_load_2addr_b64 v[8:11], v21 offset0:74 offset1:239
	ds_load_2addr_b64 v[12:15], v33 offset0:20 offset1:185
	ds_load_b64 v[28:29], v30 offset:7920
	v_add_nc_u32_e32 v16, 0x2400, v30
	s_wait_loadcnt_dscnt 0x302
	v_dual_mul_f32 v35, v1, v9 :: v_dual_add_nc_u32 v34, 0x1e00, v30
	v_mul_f32_e32 v1, v1, v8
	ds_load_2addr_b32 v[31:32], v16 offset0:6 offset1:7
	ds_load_2addr_b64 v[16:19], v30 offset1:165
	s_wait_dscnt 0x3
	v_mul_f32_e32 v36, v3, v13
	v_mul_f32_e32 v3, v3, v12
	s_wait_loadcnt_dscnt 0x202
	v_mul_f32_e32 v37, v25, v29
	v_fma_f32 v8, v0, v8, -v35
	v_fmac_f32_e32 v1, v0, v9
	v_fma_f32 v0, v2, v12, -v36
	s_wait_loadcnt 0x1
	v_dual_fmac_f32 v3, v2, v13 :: v_dual_mul_f32 v38, v5, v11
	v_mul_f32_e32 v5, v5, v10
	global_wb scope:SCOPE_SE
	s_wait_loadcnt_dscnt 0x0
	s_barrier_signal -1
	s_barrier_wait -1
	v_fma_f32 v9, v4, v10, -v38
	global_inv scope:SCOPE_SE
	v_mul_f32_e32 v40, v32, v27
	v_sub_f32_e32 v10, v16, v0
	v_fma_f32 v2, v24, v28, -v37
	v_mul_f32_e32 v25, v25, v28
	v_fmac_f32_e32 v5, v4, v11
	s_delay_alu instid0(VALU_DEP_3) | instskip(NEXT) | instid1(VALU_DEP_3)
	v_dual_sub_f32 v11, v17, v3 :: v_dual_sub_f32 v2, v8, v2
	v_fmac_f32_e32 v25, v24, v29
	s_delay_alu instid0(VALU_DEP_1) | instskip(NEXT) | instid1(VALU_DEP_1)
	v_dual_mul_f32 v39, v7, v15 :: v_dual_sub_f32 v0, v1, v25
	v_fma_f32 v4, v6, v14, -v39
	v_mul_f32_e32 v7, v7, v14
	v_fma_f32 v14, v16, 2.0, -v10
	s_delay_alu instid0(VALU_DEP_3) | instskip(NEXT) | instid1(VALU_DEP_1)
	v_dual_mul_f32 v27, v27, v31 :: v_dual_sub_f32 v12, v18, v4
	v_fma_f32 v16, v18, 2.0, -v12
	s_delay_alu instid0(VALU_DEP_4) | instskip(SKIP_2) | instid1(VALU_DEP_2)
	v_fmac_f32_e32 v7, v6, v15
	v_fma_f32 v6, v26, v31, -v40
	v_fma_f32 v15, v17, 2.0, -v11
	v_sub_f32_e32 v3, v9, v6
	v_fma_f32 v6, v8, 2.0, -v2
	s_delay_alu instid0(VALU_DEP_2) | instskip(NEXT) | instid1(VALU_DEP_1)
	v_fma_f32 v8, v9, 2.0, -v3
	v_dual_sub_f32 v8, v16, v8 :: v_dual_sub_f32 v13, v19, v7
	v_fma_f32 v7, v1, 2.0, -v0
	v_dual_sub_f32 v0, v10, v0 :: v_dual_fmac_f32 v27, v32, v26
	v_add_f32_e32 v1, v11, v2
	s_delay_alu instid0(VALU_DEP_4) | instskip(SKIP_1) | instid1(VALU_DEP_4)
	v_fma_f32 v17, v19, 2.0, -v13
	v_add_f32_e32 v3, v13, v3
	v_sub_f32_e32 v4, v5, v27
	s_delay_alu instid0(VALU_DEP_1) | instskip(SKIP_3) | instid1(VALU_DEP_4)
	v_fma_f32 v9, v5, 2.0, -v4
	v_sub_f32_e32 v2, v12, v4
	v_dual_sub_f32 v4, v14, v6 :: v_dual_sub_f32 v5, v15, v7
	v_fma_f32 v6, v10, 2.0, -v0
	v_sub_f32_e32 v9, v17, v9
	v_fma_f32 v7, v11, 2.0, -v1
	v_fma_f32 v10, v12, 2.0, -v2
	;; [unrolled: 1-line block ×7, first 2 shown]
	ds_store_2addr_b64 v34, v[0:1], v[2:3] offset0:30 offset1:195
	ds_store_2addr_b64 v21, v[6:7], v[10:11] offset0:74 offset1:239
	;; [unrolled: 1-line block ×3, first 2 shown]
	ds_store_2addr_b64 v30, v[12:13], v[14:15] offset1:165
	global_wb scope:SCOPE_SE
	s_wait_dscnt 0x0
	s_barrier_signal -1
	s_barrier_wait -1
	global_inv scope:SCOPE_SE
	ds_load_b64 v[0:1], v30
	v_lshlrev_b32_e32 v2, 3, v20
                                        ; implicit-def: $vgpr7
                                        ; implicit-def: $vgpr8
                                        ; implicit-def: $vgpr4_vgpr5
	s_delay_alu instid0(VALU_DEP_1)
	v_sub_nc_u32_e32 v6, 0, v2
                                        ; implicit-def: $vgpr2
	v_cmpx_ne_u32_e32 0, v20
	s_wait_alu 0xfffe
	s_xor_b32 s1, exec_lo, s1
	s_cbranch_execz .LBB0_23
; %bb.22:
	ds_load_b64 v[4:5], v6 offset:10560
	s_wait_dscnt 0x0
	v_dual_mov_b32 v21, 0 :: v_dual_add_f32 v8, v5, v1
	s_delay_alu instid0(VALU_DEP_1) | instskip(SKIP_1) | instid1(VALU_DEP_3)
	v_lshlrev_b64_e32 v[2:3], 3, v[20:21]
	v_sub_f32_e32 v1, v1, v5
	v_mul_f32_e32 v9, 0.5, v8
	s_delay_alu instid0(VALU_DEP_3) | instskip(SKIP_1) | instid1(VALU_DEP_4)
	v_add_co_u32 v2, s0, s4, v2
	s_wait_alu 0xf1ff
	v_add_co_ci_u32_e64 v3, s0, s5, v3, s0
	global_load_b64 v[2:3], v[2:3], off offset:10472
	v_sub_f32_e32 v7, v0, v4
	v_dual_add_f32 v0, v4, v0 :: v_dual_mul_f32 v1, 0.5, v1
	s_delay_alu instid0(VALU_DEP_2) | instskip(SKIP_1) | instid1(VALU_DEP_1)
	v_mul_f32_e32 v5, 0.5, v7
	s_wait_loadcnt 0x0
	v_mul_f32_e32 v4, v3, v5
	s_delay_alu instid0(VALU_DEP_3) | instskip(SKIP_1) | instid1(VALU_DEP_3)
	v_fma_f32 v8, v9, v3, v1
	v_fma_f32 v1, v9, v3, -v1
	v_fma_f32 v7, 0.5, v0, v4
	v_fma_f32 v0, v0, 0.5, -v4
	s_delay_alu instid0(VALU_DEP_4) | instskip(NEXT) | instid1(VALU_DEP_4)
	v_fma_f32 v8, -v2, v5, v8
	v_fma_f32 v3, -v2, v5, v1
	s_delay_alu instid0(VALU_DEP_4) | instskip(NEXT) | instid1(VALU_DEP_4)
	v_dual_mov_b32 v4, v20 :: v_dual_fmac_f32 v7, v2, v9
	v_fma_f32 v2, -v2, v9, v0
	v_mov_b32_e32 v5, v21
                                        ; implicit-def: $vgpr0_vgpr1
.LBB0_23:
	s_wait_alu 0xfffe
	s_and_not1_saveexec_b32 s0, s1
	s_cbranch_execz .LBB0_25
; %bb.24:
	s_wait_dscnt 0x0
	v_dual_mov_b32 v8, 0 :: v_dual_add_f32 v7, v0, v1
	v_mov_b32_e32 v4, 0
	v_dual_sub_f32 v2, v0, v1 :: v_dual_mov_b32 v5, 0
	ds_load_b32 v3, v8 offset:5284
	s_wait_dscnt 0x0
	v_xor_b32_e32 v0, 0x80000000, v3
	v_mov_b32_e32 v3, 0
	ds_store_b32 v8, v0 offset:5284
.LBB0_25:
	s_wait_alu 0xfffe
	s_or_b32 exec_lo, exec_lo, s0
	s_wait_dscnt 0x0
	v_lshlrev_b64_e32 v[0:1], 3, v[4:5]
	s_add_nc_u64 s[0:1], s[4:5], 0x28e8
	s_wait_alu 0xfffe
	s_delay_alu instid0(VALU_DEP_1) | instskip(SKIP_1) | instid1(VALU_DEP_2)
	v_add_co_u32 v4, s0, s0, v0
	s_wait_alu 0xf1ff
	v_add_co_ci_u32_e64 v5, s0, s1, v1, s0
	s_clause 0x2
	global_load_b64 v[9:10], v[4:5], off offset:1320
	global_load_b64 v[11:12], v[4:5], off offset:2640
	;; [unrolled: 1-line block ×3, first 2 shown]
	ds_store_2addr_b32 v30, v7, v8 offset1:1
	ds_store_b64 v6, v[2:3] offset:10560
	ds_load_b64 v[2:3], v30 offset:1320
	ds_load_b64 v[7:8], v6 offset:9240
	s_wait_dscnt 0x0
	v_dual_sub_f32 v13, v2, v7 :: v_dual_add_f32 v14, v3, v8
	v_dual_sub_f32 v3, v3, v8 :: v_dual_add_f32 v2, v2, v7
	s_delay_alu instid0(VALU_DEP_2) | instskip(NEXT) | instid1(VALU_DEP_2)
	v_dual_mul_f32 v8, 0.5, v13 :: v_dual_mul_f32 v13, 0.5, v14
	v_mul_f32_e32 v3, 0.5, v3
	s_wait_loadcnt 0x2
	s_delay_alu instid0(VALU_DEP_2) | instskip(NEXT) | instid1(VALU_DEP_2)
	v_mul_f32_e32 v7, v10, v8
	v_fma_f32 v14, v13, v10, v3
	v_fma_f32 v3, v13, v10, -v3
	s_delay_alu instid0(VALU_DEP_3)
	v_fma_f32 v10, 0.5, v2, v7
	v_fma_f32 v2, v2, 0.5, -v7
	v_add_nc_u32_e32 v7, 0x400, v30
	v_fma_f32 v14, -v9, v8, v14
	v_fma_f32 v3, -v9, v8, v3
	v_fmac_f32_e32 v10, v9, v13
	v_fma_f32 v2, -v9, v13, v2
	ds_store_2addr_b32 v7, v10, v14 offset0:74 offset1:75
	ds_store_b64 v6, v[2:3] offset:9240
	ds_load_b64 v[2:3], v30 offset:2640
	ds_load_b64 v[7:8], v6 offset:7920
	s_wait_dscnt 0x0
	v_dual_add_f32 v10, v3, v8 :: v_dual_sub_f32 v9, v2, v7
	v_dual_sub_f32 v3, v3, v8 :: v_dual_add_f32 v2, v2, v7
	s_delay_alu instid0(VALU_DEP_2) | instskip(NEXT) | instid1(VALU_DEP_2)
	v_dual_mul_f32 v8, 0.5, v9 :: v_dual_mul_f32 v9, 0.5, v10
	v_mul_f32_e32 v3, 0.5, v3
	s_wait_loadcnt 0x1
	s_delay_alu instid0(VALU_DEP_2) | instskip(NEXT) | instid1(VALU_DEP_2)
	v_mul_f32_e32 v7, v12, v8
	v_fma_f32 v10, v9, v12, v3
	v_fma_f32 v3, v9, v12, -v3
	s_delay_alu instid0(VALU_DEP_3)
	v_fma_f32 v12, 0.5, v2, v7
	v_fma_f32 v7, v2, 0.5, -v7
	v_add_nc_u32_e32 v2, 0x800, v30
	v_fma_f32 v10, -v11, v8, v10
	v_fma_f32 v8, -v11, v8, v3
	v_fmac_f32_e32 v12, v11, v9
	v_fma_f32 v7, -v11, v9, v7
	ds_store_2addr_b32 v2, v12, v10 offset0:148 offset1:149
	ds_store_b64 v6, v[7:8] offset:7920
	ds_load_b64 v[7:8], v30 offset:3960
	ds_load_b64 v[9:10], v6 offset:6600
	s_wait_dscnt 0x0
	v_sub_f32_e32 v3, v7, v9
	v_add_f32_e32 v11, v8, v10
	v_dual_sub_f32 v8, v8, v10 :: v_dual_add_f32 v7, v7, v9
	s_delay_alu instid0(VALU_DEP_1) | instskip(NEXT) | instid1(VALU_DEP_3)
	v_mul_f32_e32 v8, 0.5, v8
	v_mul_f32_e32 v10, 0.5, v11
	;; [unrolled: 1-line block ×3, first 2 shown]
	s_wait_loadcnt 0x0
	s_delay_alu instid0(VALU_DEP_2) | instskip(NEXT) | instid1(VALU_DEP_2)
	v_fma_f32 v11, v10, v5, v8
	v_mul_f32_e32 v9, v5, v3
	v_fma_f32 v5, v10, v5, -v8
	s_delay_alu instid0(VALU_DEP_2) | instskip(SKIP_2) | instid1(VALU_DEP_3)
	v_fma_f32 v8, 0.5, v7, v9
	v_fma_f32 v7, v7, 0.5, -v9
	v_add_nc_u32_e32 v9, 0xc00, v30
	v_fmac_f32_e32 v8, v4, v10
	v_fma_f32 v11, -v4, v3, v11
	v_fma_f32 v5, -v4, v3, v5
	;; [unrolled: 1-line block ×3, first 2 shown]
	ds_store_2addr_b32 v9, v8, v11 offset0:222 offset1:223
	ds_store_b64 v6, v[4:5] offset:6600
	global_wb scope:SCOPE_SE
	s_wait_dscnt 0x0
	s_barrier_signal -1
	s_barrier_wait -1
	global_inv scope:SCOPE_SE
	s_and_saveexec_b32 s0, vcc_lo
	s_cbranch_execz .LBB0_28
; %bb.26:
	v_add_nc_u32_e32 v3, 0x1400, v30
	v_add_nc_u32_e32 v16, 0x1e00, v30
	ds_load_2addr_b64 v[4:7], v30 offset1:165
	ds_load_2addr_b64 v[8:11], v2 offset0:74 offset1:239
	ds_load_2addr_b64 v[12:15], v3 offset0:20 offset1:185
	;; [unrolled: 1-line block ×3, first 2 shown]
	v_add_co_u32 v2, vcc_lo, s8, v22
	s_wait_alu 0xfffd
	v_add_co_ci_u32_e32 v3, vcc_lo, s9, v23, vcc_lo
	s_delay_alu instid0(VALU_DEP_2) | instskip(SKIP_1) | instid1(VALU_DEP_2)
	v_add_co_u32 v0, vcc_lo, v2, v0
	s_wait_alu 0xfffd
	v_add_co_ci_u32_e32 v1, vcc_lo, v3, v1, vcc_lo
	v_cmp_eq_u32_e32 vcc_lo, 0xa4, v20
	s_wait_dscnt 0x3
	s_clause 0x1
	global_store_b64 v[0:1], v[4:5], off
	global_store_b64 v[0:1], v[6:7], off offset:1320
	s_wait_dscnt 0x2
	s_clause 0x1
	global_store_b64 v[0:1], v[8:9], off offset:2640
	global_store_b64 v[0:1], v[10:11], off offset:3960
	s_wait_dscnt 0x1
	s_clause 0x1
	global_store_b64 v[0:1], v[12:13], off offset:5280
	;; [unrolled: 4-line block ×3, first 2 shown]
	global_store_b64 v[0:1], v[18:19], off offset:9240
	s_and_b32 exec_lo, exec_lo, vcc_lo
	s_cbranch_execz .LBB0_28
; %bb.27:
	v_mov_b32_e32 v0, 0
	ds_load_b64 v[0:1], v0 offset:10560
	s_wait_dscnt 0x0
	global_store_b64 v[2:3], v[0:1], off offset:10560
.LBB0_28:
	s_nop 0
	s_sendmsg sendmsg(MSG_DEALLOC_VGPRS)
	s_endpgm
	.section	.rodata,"a",@progbits
	.p2align	6, 0x0
	.amdhsa_kernel fft_rtc_fwd_len1320_factors_11_2_3_5_4_wgs_165_tpt_165_sp_ip_CI_unitstride_sbrr_R2C_dirReg
		.amdhsa_group_segment_fixed_size 0
		.amdhsa_private_segment_fixed_size 0
		.amdhsa_kernarg_size 88
		.amdhsa_user_sgpr_count 2
		.amdhsa_user_sgpr_dispatch_ptr 0
		.amdhsa_user_sgpr_queue_ptr 0
		.amdhsa_user_sgpr_kernarg_segment_ptr 1
		.amdhsa_user_sgpr_dispatch_id 0
		.amdhsa_user_sgpr_private_segment_size 0
		.amdhsa_wavefront_size32 1
		.amdhsa_uses_dynamic_stack 0
		.amdhsa_enable_private_segment 0
		.amdhsa_system_sgpr_workgroup_id_x 1
		.amdhsa_system_sgpr_workgroup_id_y 0
		.amdhsa_system_sgpr_workgroup_id_z 0
		.amdhsa_system_sgpr_workgroup_info 0
		.amdhsa_system_vgpr_workitem_id 0
		.amdhsa_next_free_vgpr 95
		.amdhsa_next_free_sgpr 32
		.amdhsa_reserve_vcc 1
		.amdhsa_float_round_mode_32 0
		.amdhsa_float_round_mode_16_64 0
		.amdhsa_float_denorm_mode_32 3
		.amdhsa_float_denorm_mode_16_64 3
		.amdhsa_fp16_overflow 0
		.amdhsa_workgroup_processor_mode 1
		.amdhsa_memory_ordered 1
		.amdhsa_forward_progress 0
		.amdhsa_round_robin_scheduling 0
		.amdhsa_exception_fp_ieee_invalid_op 0
		.amdhsa_exception_fp_denorm_src 0
		.amdhsa_exception_fp_ieee_div_zero 0
		.amdhsa_exception_fp_ieee_overflow 0
		.amdhsa_exception_fp_ieee_underflow 0
		.amdhsa_exception_fp_ieee_inexact 0
		.amdhsa_exception_int_div_zero 0
	.end_amdhsa_kernel
	.text
.Lfunc_end0:
	.size	fft_rtc_fwd_len1320_factors_11_2_3_5_4_wgs_165_tpt_165_sp_ip_CI_unitstride_sbrr_R2C_dirReg, .Lfunc_end0-fft_rtc_fwd_len1320_factors_11_2_3_5_4_wgs_165_tpt_165_sp_ip_CI_unitstride_sbrr_R2C_dirReg
                                        ; -- End function
	.section	.AMDGPU.csdata,"",@progbits
; Kernel info:
; codeLenInByte = 8704
; NumSgprs: 34
; NumVgprs: 95
; ScratchSize: 0
; MemoryBound: 0
; FloatMode: 240
; IeeeMode: 1
; LDSByteSize: 0 bytes/workgroup (compile time only)
; SGPRBlocks: 4
; VGPRBlocks: 11
; NumSGPRsForWavesPerEU: 34
; NumVGPRsForWavesPerEU: 95
; Occupancy: 15
; WaveLimiterHint : 1
; COMPUTE_PGM_RSRC2:SCRATCH_EN: 0
; COMPUTE_PGM_RSRC2:USER_SGPR: 2
; COMPUTE_PGM_RSRC2:TRAP_HANDLER: 0
; COMPUTE_PGM_RSRC2:TGID_X_EN: 1
; COMPUTE_PGM_RSRC2:TGID_Y_EN: 0
; COMPUTE_PGM_RSRC2:TGID_Z_EN: 0
; COMPUTE_PGM_RSRC2:TIDIG_COMP_CNT: 0
	.text
	.p2alignl 7, 3214868480
	.fill 96, 4, 3214868480
	.type	__hip_cuid_c4a707081626904c,@object ; @__hip_cuid_c4a707081626904c
	.section	.bss,"aw",@nobits
	.globl	__hip_cuid_c4a707081626904c
__hip_cuid_c4a707081626904c:
	.byte	0                               ; 0x0
	.size	__hip_cuid_c4a707081626904c, 1

	.ident	"AMD clang version 19.0.0git (https://github.com/RadeonOpenCompute/llvm-project roc-6.4.0 25133 c7fe45cf4b819c5991fe208aaa96edf142730f1d)"
	.section	".note.GNU-stack","",@progbits
	.addrsig
	.addrsig_sym __hip_cuid_c4a707081626904c
	.amdgpu_metadata
---
amdhsa.kernels:
  - .args:
      - .actual_access:  read_only
        .address_space:  global
        .offset:         0
        .size:           8
        .value_kind:     global_buffer
      - .offset:         8
        .size:           8
        .value_kind:     by_value
      - .actual_access:  read_only
        .address_space:  global
        .offset:         16
        .size:           8
        .value_kind:     global_buffer
      - .actual_access:  read_only
        .address_space:  global
        .offset:         24
        .size:           8
        .value_kind:     global_buffer
      - .offset:         32
        .size:           8
        .value_kind:     by_value
      - .actual_access:  read_only
        .address_space:  global
        .offset:         40
        .size:           8
        .value_kind:     global_buffer
      - .actual_access:  read_only
        .address_space:  global
        .offset:         48
        .size:           8
        .value_kind:     global_buffer
      - .offset:         56
        .size:           4
        .value_kind:     by_value
      - .actual_access:  read_only
        .address_space:  global
        .offset:         64
        .size:           8
        .value_kind:     global_buffer
      - .actual_access:  read_only
        .address_space:  global
        .offset:         72
        .size:           8
        .value_kind:     global_buffer
      - .address_space:  global
        .offset:         80
        .size:           8
        .value_kind:     global_buffer
    .group_segment_fixed_size: 0
    .kernarg_segment_align: 8
    .kernarg_segment_size: 88
    .language:       OpenCL C
    .language_version:
      - 2
      - 0
    .max_flat_workgroup_size: 165
    .name:           fft_rtc_fwd_len1320_factors_11_2_3_5_4_wgs_165_tpt_165_sp_ip_CI_unitstride_sbrr_R2C_dirReg
    .private_segment_fixed_size: 0
    .sgpr_count:     34
    .sgpr_spill_count: 0
    .symbol:         fft_rtc_fwd_len1320_factors_11_2_3_5_4_wgs_165_tpt_165_sp_ip_CI_unitstride_sbrr_R2C_dirReg.kd
    .uniform_work_group_size: 1
    .uses_dynamic_stack: false
    .vgpr_count:     95
    .vgpr_spill_count: 0
    .wavefront_size: 32
    .workgroup_processor_mode: 1
amdhsa.target:   amdgcn-amd-amdhsa--gfx1201
amdhsa.version:
  - 1
  - 2
...

	.end_amdgpu_metadata
